;; amdgpu-corpus repo=ROCm/rocFFT kind=compiled arch=gfx1201 opt=O3
	.text
	.amdgcn_target "amdgcn-amd-amdhsa--gfx1201"
	.amdhsa_code_object_version 6
	.protected	fft_rtc_back_len1134_factors_2_3_3_3_3_7_wgs_126_tpt_126_half_op_CI_CI_sbrr_dirReg ; -- Begin function fft_rtc_back_len1134_factors_2_3_3_3_3_7_wgs_126_tpt_126_half_op_CI_CI_sbrr_dirReg
	.globl	fft_rtc_back_len1134_factors_2_3_3_3_3_7_wgs_126_tpt_126_half_op_CI_CI_sbrr_dirReg
	.p2align	8
	.type	fft_rtc_back_len1134_factors_2_3_3_3_3_7_wgs_126_tpt_126_half_op_CI_CI_sbrr_dirReg,@function
fft_rtc_back_len1134_factors_2_3_3_3_3_7_wgs_126_tpt_126_half_op_CI_CI_sbrr_dirReg: ; @fft_rtc_back_len1134_factors_2_3_3_3_3_7_wgs_126_tpt_126_half_op_CI_CI_sbrr_dirReg
; %bb.0:
	s_clause 0x2
	s_load_b128 s[12:15], s[0:1], 0x18
	s_load_b128 s[8:11], s[0:1], 0x0
	;; [unrolled: 1-line block ×3, first 2 shown]
	v_mul_u32_u24_e32 v1, 0x209, v0
	v_mov_b32_e32 v7, 0
	v_mov_b32_e32 v5, 0
	;; [unrolled: 1-line block ×3, first 2 shown]
	s_wait_kmcnt 0x0
	s_load_b64 s[18:19], s[12:13], 0x0
	s_load_b64 s[16:17], s[14:15], 0x0
	v_lshrrev_b32_e32 v1, 16, v1
	v_cmp_lt_u64_e64 s2, s[10:11], 2
	s_delay_alu instid0(VALU_DEP_2) | instskip(NEXT) | instid1(VALU_DEP_2)
	v_dual_mov_b32 v10, v7 :: v_dual_add_nc_u32 v9, ttmp9, v1
	s_and_b32 vcc_lo, exec_lo, s2
	s_cbranch_vccnz .LBB0_8
; %bb.1:
	s_load_b64 s[2:3], s[0:1], 0x10
	v_mov_b32_e32 v5, 0
	v_mov_b32_e32 v6, 0
	s_delay_alu instid0(VALU_DEP_2)
	v_mov_b32_e32 v1, v5
	s_add_nc_u64 s[20:21], s[14:15], 8
	s_add_nc_u64 s[22:23], s[12:13], 8
	s_mov_b64 s[24:25], 1
	v_mov_b32_e32 v2, v6
	s_wait_kmcnt 0x0
	s_add_nc_u64 s[26:27], s[2:3], 8
	s_mov_b32 s3, 0
.LBB0_2:                                ; =>This Inner Loop Header: Depth=1
	s_load_b64 s[28:29], s[26:27], 0x0
                                        ; implicit-def: $vgpr3_vgpr4
	s_mov_b32 s2, exec_lo
	s_wait_kmcnt 0x0
	v_or_b32_e32 v8, s29, v10
	s_delay_alu instid0(VALU_DEP_1)
	v_cmpx_ne_u64_e32 0, v[7:8]
	s_wait_alu 0xfffe
	s_xor_b32 s30, exec_lo, s2
	s_cbranch_execz .LBB0_4
; %bb.3:                                ;   in Loop: Header=BB0_2 Depth=1
	s_cvt_f32_u32 s2, s28
	s_cvt_f32_u32 s31, s29
	s_sub_nc_u64 s[36:37], 0, s[28:29]
	s_wait_alu 0xfffe
	s_delay_alu instid0(SALU_CYCLE_1) | instskip(SKIP_1) | instid1(SALU_CYCLE_2)
	s_fmamk_f32 s2, s31, 0x4f800000, s2
	s_wait_alu 0xfffe
	v_s_rcp_f32 s2, s2
	s_delay_alu instid0(TRANS32_DEP_1) | instskip(SKIP_1) | instid1(SALU_CYCLE_2)
	s_mul_f32 s2, s2, 0x5f7ffffc
	s_wait_alu 0xfffe
	s_mul_f32 s31, s2, 0x2f800000
	s_wait_alu 0xfffe
	s_delay_alu instid0(SALU_CYCLE_2) | instskip(SKIP_1) | instid1(SALU_CYCLE_2)
	s_trunc_f32 s31, s31
	s_wait_alu 0xfffe
	s_fmamk_f32 s2, s31, 0xcf800000, s2
	s_cvt_u32_f32 s35, s31
	s_wait_alu 0xfffe
	s_delay_alu instid0(SALU_CYCLE_1) | instskip(SKIP_1) | instid1(SALU_CYCLE_2)
	s_cvt_u32_f32 s34, s2
	s_wait_alu 0xfffe
	s_mul_u64 s[38:39], s[36:37], s[34:35]
	s_wait_alu 0xfffe
	s_mul_hi_u32 s41, s34, s39
	s_mul_i32 s40, s34, s39
	s_mul_hi_u32 s2, s34, s38
	s_mul_i32 s33, s35, s38
	s_wait_alu 0xfffe
	s_add_nc_u64 s[40:41], s[2:3], s[40:41]
	s_mul_hi_u32 s31, s35, s38
	s_mul_hi_u32 s42, s35, s39
	s_add_co_u32 s2, s40, s33
	s_wait_alu 0xfffe
	s_add_co_ci_u32 s2, s41, s31
	s_mul_i32 s38, s35, s39
	s_add_co_ci_u32 s39, s42, 0
	s_wait_alu 0xfffe
	s_add_nc_u64 s[38:39], s[2:3], s[38:39]
	s_wait_alu 0xfffe
	v_add_co_u32 v3, s2, s34, s38
	s_delay_alu instid0(VALU_DEP_1) | instskip(SKIP_1) | instid1(VALU_DEP_1)
	s_cmp_lg_u32 s2, 0
	s_add_co_ci_u32 s35, s35, s39
	v_readfirstlane_b32 s34, v3
	s_wait_alu 0xfffe
	s_delay_alu instid0(VALU_DEP_1)
	s_mul_u64 s[36:37], s[36:37], s[34:35]
	s_wait_alu 0xfffe
	s_mul_hi_u32 s39, s34, s37
	s_mul_i32 s38, s34, s37
	s_mul_hi_u32 s2, s34, s36
	s_mul_i32 s33, s35, s36
	s_wait_alu 0xfffe
	s_add_nc_u64 s[38:39], s[2:3], s[38:39]
	s_mul_hi_u32 s31, s35, s36
	s_mul_hi_u32 s34, s35, s37
	s_wait_alu 0xfffe
	s_add_co_u32 s2, s38, s33
	s_add_co_ci_u32 s2, s39, s31
	s_mul_i32 s36, s35, s37
	s_add_co_ci_u32 s37, s34, 0
	s_wait_alu 0xfffe
	s_add_nc_u64 s[36:37], s[2:3], s[36:37]
	s_wait_alu 0xfffe
	v_add_co_u32 v8, s2, v3, s36
	s_delay_alu instid0(VALU_DEP_1) | instskip(SKIP_1) | instid1(VALU_DEP_1)
	s_cmp_lg_u32 s2, 0
	s_add_co_ci_u32 s2, s35, s37
	v_mul_hi_u32 v15, v9, v8
	s_wait_alu 0xfffe
	v_mad_co_u64_u32 v[3:4], null, v9, s2, 0
	v_mad_co_u64_u32 v[11:12], null, v10, v8, 0
	;; [unrolled: 1-line block ×3, first 2 shown]
	s_delay_alu instid0(VALU_DEP_3) | instskip(SKIP_1) | instid1(VALU_DEP_4)
	v_add_co_u32 v3, vcc_lo, v15, v3
	s_wait_alu 0xfffd
	v_add_co_ci_u32_e32 v4, vcc_lo, 0, v4, vcc_lo
	s_delay_alu instid0(VALU_DEP_2) | instskip(SKIP_1) | instid1(VALU_DEP_2)
	v_add_co_u32 v3, vcc_lo, v3, v11
	s_wait_alu 0xfffd
	v_add_co_ci_u32_e32 v3, vcc_lo, v4, v12, vcc_lo
	s_wait_alu 0xfffd
	v_add_co_ci_u32_e32 v4, vcc_lo, 0, v14, vcc_lo
	s_delay_alu instid0(VALU_DEP_2) | instskip(SKIP_1) | instid1(VALU_DEP_2)
	v_add_co_u32 v8, vcc_lo, v3, v13
	s_wait_alu 0xfffd
	v_add_co_ci_u32_e32 v11, vcc_lo, 0, v4, vcc_lo
	s_delay_alu instid0(VALU_DEP_2) | instskip(SKIP_1) | instid1(VALU_DEP_3)
	v_mul_lo_u32 v12, s29, v8
	v_mad_co_u64_u32 v[3:4], null, s28, v8, 0
	v_mul_lo_u32 v13, s28, v11
	s_delay_alu instid0(VALU_DEP_2) | instskip(NEXT) | instid1(VALU_DEP_2)
	v_sub_co_u32 v3, vcc_lo, v9, v3
	v_add3_u32 v4, v4, v13, v12
	s_delay_alu instid0(VALU_DEP_1) | instskip(SKIP_1) | instid1(VALU_DEP_1)
	v_sub_nc_u32_e32 v12, v10, v4
	s_wait_alu 0xfffd
	v_subrev_co_ci_u32_e64 v12, s2, s29, v12, vcc_lo
	v_add_co_u32 v13, s2, v8, 2
	s_wait_alu 0xf1ff
	v_add_co_ci_u32_e64 v14, s2, 0, v11, s2
	v_sub_co_u32 v15, s2, v3, s28
	v_sub_co_ci_u32_e32 v4, vcc_lo, v10, v4, vcc_lo
	s_wait_alu 0xf1ff
	v_subrev_co_ci_u32_e64 v12, s2, 0, v12, s2
	s_delay_alu instid0(VALU_DEP_3) | instskip(NEXT) | instid1(VALU_DEP_3)
	v_cmp_le_u32_e32 vcc_lo, s28, v15
	v_cmp_eq_u32_e64 s2, s29, v4
	s_wait_alu 0xfffd
	v_cndmask_b32_e64 v15, 0, -1, vcc_lo
	v_cmp_le_u32_e32 vcc_lo, s29, v12
	s_wait_alu 0xfffd
	v_cndmask_b32_e64 v16, 0, -1, vcc_lo
	v_cmp_le_u32_e32 vcc_lo, s28, v3
	;; [unrolled: 3-line block ×3, first 2 shown]
	s_wait_alu 0xfffd
	v_cndmask_b32_e64 v17, 0, -1, vcc_lo
	v_cmp_eq_u32_e32 vcc_lo, s29, v12
	s_wait_alu 0xf1ff
	s_delay_alu instid0(VALU_DEP_2)
	v_cndmask_b32_e64 v3, v17, v3, s2
	s_wait_alu 0xfffd
	v_cndmask_b32_e32 v12, v16, v15, vcc_lo
	v_add_co_u32 v15, vcc_lo, v8, 1
	s_wait_alu 0xfffd
	v_add_co_ci_u32_e32 v16, vcc_lo, 0, v11, vcc_lo
	s_delay_alu instid0(VALU_DEP_3) | instskip(SKIP_1) | instid1(VALU_DEP_2)
	v_cmp_ne_u32_e32 vcc_lo, 0, v12
	s_wait_alu 0xfffd
	v_cndmask_b32_e32 v4, v16, v14, vcc_lo
	v_cndmask_b32_e32 v12, v15, v13, vcc_lo
	v_cmp_ne_u32_e32 vcc_lo, 0, v3
	s_wait_alu 0xfffd
	s_delay_alu instid0(VALU_DEP_3) | instskip(NEXT) | instid1(VALU_DEP_3)
	v_cndmask_b32_e32 v4, v11, v4, vcc_lo
	v_cndmask_b32_e32 v3, v8, v12, vcc_lo
.LBB0_4:                                ;   in Loop: Header=BB0_2 Depth=1
	s_wait_alu 0xfffe
	s_and_not1_saveexec_b32 s2, s30
	s_cbranch_execz .LBB0_6
; %bb.5:                                ;   in Loop: Header=BB0_2 Depth=1
	v_cvt_f32_u32_e32 v3, s28
	s_sub_co_i32 s30, 0, s28
	s_delay_alu instid0(VALU_DEP_1) | instskip(NEXT) | instid1(TRANS32_DEP_1)
	v_rcp_iflag_f32_e32 v3, v3
	v_mul_f32_e32 v3, 0x4f7ffffe, v3
	s_delay_alu instid0(VALU_DEP_1) | instskip(SKIP_1) | instid1(VALU_DEP_1)
	v_cvt_u32_f32_e32 v3, v3
	s_wait_alu 0xfffe
	v_mul_lo_u32 v4, s30, v3
	s_delay_alu instid0(VALU_DEP_1) | instskip(NEXT) | instid1(VALU_DEP_1)
	v_mul_hi_u32 v4, v3, v4
	v_add_nc_u32_e32 v3, v3, v4
	s_delay_alu instid0(VALU_DEP_1) | instskip(NEXT) | instid1(VALU_DEP_1)
	v_mul_hi_u32 v3, v9, v3
	v_mul_lo_u32 v4, v3, s28
	v_add_nc_u32_e32 v8, 1, v3
	s_delay_alu instid0(VALU_DEP_2) | instskip(NEXT) | instid1(VALU_DEP_1)
	v_sub_nc_u32_e32 v4, v9, v4
	v_subrev_nc_u32_e32 v11, s28, v4
	v_cmp_le_u32_e32 vcc_lo, s28, v4
	s_wait_alu 0xfffd
	s_delay_alu instid0(VALU_DEP_2) | instskip(NEXT) | instid1(VALU_DEP_1)
	v_dual_cndmask_b32 v4, v4, v11 :: v_dual_cndmask_b32 v3, v3, v8
	v_cmp_le_u32_e32 vcc_lo, s28, v4
	s_delay_alu instid0(VALU_DEP_2) | instskip(SKIP_2) | instid1(VALU_DEP_2)
	v_add_nc_u32_e32 v8, 1, v3
	v_mov_b32_e32 v4, v7
	s_wait_alu 0xfffd
	v_cndmask_b32_e32 v3, v3, v8, vcc_lo
.LBB0_6:                                ;   in Loop: Header=BB0_2 Depth=1
	s_wait_alu 0xfffe
	s_or_b32 exec_lo, exec_lo, s2
	v_mul_lo_u32 v8, v4, s28
	s_delay_alu instid0(VALU_DEP_2)
	v_mul_lo_u32 v13, v3, s29
	s_load_b64 s[30:31], s[22:23], 0x0
	v_mad_co_u64_u32 v[11:12], null, v3, s28, 0
	s_load_b64 s[28:29], s[20:21], 0x0
	s_add_nc_u64 s[24:25], s[24:25], 1
	s_add_nc_u64 s[20:21], s[20:21], 8
	s_wait_alu 0xfffe
	v_cmp_ge_u64_e64 s2, s[24:25], s[10:11]
	s_add_nc_u64 s[22:23], s[22:23], 8
	s_add_nc_u64 s[26:27], s[26:27], 8
	v_add3_u32 v8, v12, v13, v8
	v_sub_co_u32 v9, vcc_lo, v9, v11
	s_wait_alu 0xfffd
	s_delay_alu instid0(VALU_DEP_2) | instskip(SKIP_2) | instid1(VALU_DEP_1)
	v_sub_co_ci_u32_e32 v8, vcc_lo, v10, v8, vcc_lo
	s_and_b32 vcc_lo, exec_lo, s2
	s_wait_kmcnt 0x0
	v_mul_lo_u32 v10, s30, v8
	v_mul_lo_u32 v11, s31, v9
	v_mad_co_u64_u32 v[5:6], null, s30, v9, v[5:6]
	v_mul_lo_u32 v8, s28, v8
	v_mul_lo_u32 v12, s29, v9
	v_mad_co_u64_u32 v[1:2], null, s28, v9, v[1:2]
	s_delay_alu instid0(VALU_DEP_4) | instskip(NEXT) | instid1(VALU_DEP_2)
	v_add3_u32 v6, v11, v6, v10
	v_add3_u32 v2, v12, v2, v8
	s_wait_alu 0xfffe
	s_cbranch_vccnz .LBB0_9
; %bb.7:                                ;   in Loop: Header=BB0_2 Depth=1
	v_dual_mov_b32 v10, v4 :: v_dual_mov_b32 v9, v3
	s_branch .LBB0_2
.LBB0_8:
	v_dual_mov_b32 v1, v5 :: v_dual_mov_b32 v2, v6
	s_delay_alu instid0(VALU_DEP_2)
	v_dual_mov_b32 v3, v9 :: v_dual_mov_b32 v4, v10
.LBB0_9:
	s_load_b64 s[0:1], s[0:1], 0x28
	v_mul_hi_u32 v7, 0x2082083, v0
	s_lshl_b64 s[10:11], s[10:11], 3
                                        ; implicit-def: $vgpr17
                                        ; implicit-def: $vgpr18
                                        ; implicit-def: $vgpr10
                                        ; implicit-def: $vgpr9
	s_wait_kmcnt 0x0
	v_cmp_gt_u64_e32 vcc_lo, s[0:1], v[3:4]
	v_cmp_le_u64_e64 s0, s[0:1], v[3:4]
	s_delay_alu instid0(VALU_DEP_1)
	s_and_saveexec_b32 s1, s0
	s_wait_alu 0xfffe
	s_xor_b32 s0, exec_lo, s1
; %bb.10:
	v_mul_u32_u24_e32 v5, 0x7e, v7
                                        ; implicit-def: $vgpr7
	s_delay_alu instid0(VALU_DEP_1) | instskip(NEXT) | instid1(VALU_DEP_1)
	v_sub_nc_u32_e32 v17, v0, v5
                                        ; implicit-def: $vgpr0
                                        ; implicit-def: $vgpr5_vgpr6
	v_add_nc_u32_e32 v18, 0x7e, v17
	v_add_nc_u32_e32 v10, 0xfc, v17
	;; [unrolled: 1-line block ×3, first 2 shown]
; %bb.11:
	s_wait_alu 0xfffe
	s_or_saveexec_b32 s1, s0
	s_add_nc_u64 s[2:3], s[14:15], s[10:11]
	s_wait_alu 0xfffe
	s_xor_b32 exec_lo, exec_lo, s1
	s_cbranch_execz .LBB0_13
; %bb.12:
	s_add_nc_u64 s[10:11], s[12:13], s[10:11]
	v_mul_u32_u24_e32 v7, 0x7e, v7
	s_load_b64 s[10:11], s[10:11], 0x0
	v_lshlrev_b64_e32 v[5:6], 2, v[5:6]
	s_delay_alu instid0(VALU_DEP_2) | instskip(NEXT) | instid1(VALU_DEP_1)
	v_sub_nc_u32_e32 v17, v0, v7
	v_mad_co_u64_u32 v[7:8], null, s18, v17, 0
	v_add_nc_u32_e32 v18, 0x7e, v17
	v_add_nc_u32_e32 v9, 0x17a, v17
	v_add_nc_u32_e32 v10, 0xfc, v17
	v_add_nc_u32_e32 v26, 0x1f8, v17
	v_add_nc_u32_e32 v27, 0x2f4, v17
	v_mad_co_u64_u32 v[11:12], null, s18, v18, 0
	v_mov_b32_e32 v0, v8
	v_mad_co_u64_u32 v[13:14], null, s18, v10, 0
	s_wait_kmcnt 0x0
	v_mul_lo_u32 v8, s11, v3
	v_mul_lo_u32 v23, s10, v4
	v_mad_co_u64_u32 v[19:20], null, s10, v3, 0
	v_mad_co_u64_u32 v[21:22], null, s19, v17, v[0:1]
	v_mov_b32_e32 v0, v12
	v_mad_co_u64_u32 v[15:16], null, s18, v9, 0
	v_mov_b32_e32 v12, v14
	v_add3_u32 v20, v20, v23, v8
	s_delay_alu instid0(VALU_DEP_4) | instskip(SKIP_1) | instid1(VALU_DEP_4)
	v_mad_co_u64_u32 v[22:23], null, s19, v18, v[0:1]
	v_add_nc_u32_e32 v29, 0x372, v17
	v_mad_co_u64_u32 v[23:24], null, s19, v10, v[12:13]
	s_delay_alu instid0(VALU_DEP_4) | instskip(SKIP_3) | instid1(VALU_DEP_4)
	v_lshlrev_b64_e32 v[19:20], 2, v[19:20]
	v_mov_b32_e32 v14, v16
	v_mov_b32_e32 v8, v21
	;; [unrolled: 1-line block ×3, first 2 shown]
	v_add_co_u32 v0, s0, s4, v19
	s_wait_alu 0xf1ff
	v_add_co_ci_u32_e64 v16, s0, s5, v20, s0
	v_mad_co_u64_u32 v[24:25], null, s19, v9, v[14:15]
	s_delay_alu instid0(VALU_DEP_3) | instskip(SKIP_1) | instid1(VALU_DEP_3)
	v_add_co_u32 v30, s0, v0, v5
	s_wait_alu 0xf1ff
	v_add_co_ci_u32_e64 v31, s0, v16, v6, s0
	v_lshlrev_b64_e32 v[5:6], 2, v[11:12]
	v_mad_co_u64_u32 v[11:12], null, s18, v26, 0
	v_dual_mov_b32 v14, v23 :: v_dual_add_nc_u32 v25, 0x276, v17
	v_mov_b32_e32 v16, v24
	s_delay_alu instid0(VALU_DEP_2) | instskip(NEXT) | instid1(VALU_DEP_4)
	v_mad_co_u64_u32 v[19:20], null, s18, v25, 0
	v_mov_b32_e32 v0, v12
	s_delay_alu instid0(VALU_DEP_4) | instskip(NEXT) | instid1(VALU_DEP_4)
	v_lshlrev_b64_e32 v[13:14], 2, v[13:14]
	v_lshlrev_b64_e32 v[15:16], 2, v[15:16]
	s_delay_alu instid0(VALU_DEP_3) | instskip(SKIP_2) | instid1(VALU_DEP_3)
	v_mad_co_u64_u32 v[21:22], null, s19, v26, v[0:1]
	v_mad_co_u64_u32 v[22:23], null, s18, v27, 0
	v_mov_b32_e32 v0, v20
	v_mov_b32_e32 v12, v21
	s_delay_alu instid0(VALU_DEP_2) | instskip(NEXT) | instid1(VALU_DEP_4)
	v_mad_co_u64_u32 v[20:21], null, s19, v25, v[0:1]
	v_dual_mov_b32 v0, v23 :: v_dual_add_nc_u32 v21, 0x3f0, v17
	v_mad_co_u64_u32 v[24:25], null, s18, v29, 0
	v_lshlrev_b64_e32 v[7:8], 2, v[7:8]
	s_delay_alu instid0(VALU_DEP_3) | instskip(NEXT) | instid1(VALU_DEP_4)
	v_mad_co_u64_u32 v[26:27], null, s19, v27, v[0:1]
	v_mad_co_u64_u32 v[27:28], null, s18, v21, 0
	v_lshlrev_b64_e32 v[11:12], 2, v[11:12]
	s_delay_alu instid0(VALU_DEP_4)
	v_add_co_u32 v7, s0, v30, v7
	v_mov_b32_e32 v0, v25
	s_wait_alu 0xf1ff
	v_add_co_ci_u32_e64 v8, s0, v31, v8, s0
	v_add_co_u32 v5, s0, v30, v5
	s_wait_alu 0xf1ff
	v_add_co_ci_u32_e64 v6, s0, v31, v6, s0
	v_mov_b32_e32 v23, v26
	v_mad_co_u64_u32 v[25:26], null, s19, v29, v[0:1]
	v_mov_b32_e32 v0, v28
	v_add_co_u32 v13, s0, v30, v13
	s_wait_alu 0xf1ff
	v_add_co_ci_u32_e64 v14, s0, v31, v14, s0
	v_add_co_u32 v15, s0, v30, v15
	v_lshlrev_b64_e32 v[19:20], 2, v[19:20]
	v_mad_co_u64_u32 v[28:29], null, s19, v21, v[0:1]
	s_wait_alu 0xf1ff
	v_add_co_ci_u32_e64 v16, s0, v31, v16, s0
	v_add_co_u32 v11, s0, v30, v11
	v_lshlrev_b64_e32 v[21:22], 2, v[22:23]
	s_wait_alu 0xf1ff
	v_add_co_ci_u32_e64 v12, s0, v31, v12, s0
	v_add_co_u32 v19, s0, v30, v19
	v_lshlrev_b64_e32 v[23:24], 2, v[24:25]
	;; [unrolled: 4-line block ×3, first 2 shown]
	s_wait_alu 0xf1ff
	v_add_co_ci_u32_e64 v22, s0, v31, v22, s0
	v_add_co_u32 v23, s0, v30, v23
	s_wait_alu 0xf1ff
	v_add_co_ci_u32_e64 v24, s0, v31, v24, s0
	v_add_co_u32 v25, s0, v30, v25
	s_wait_alu 0xf1ff
	v_add_co_ci_u32_e64 v26, s0, v31, v26, s0
	s_clause 0x8
	global_load_b32 v0, v[7:8], off
	global_load_b32 v5, v[5:6], off
	;; [unrolled: 1-line block ×9, first 2 shown]
	v_lshl_add_u32 v15, v17, 2, 0
	s_delay_alu instid0(VALU_DEP_1)
	v_add_nc_u32_e32 v19, 0x600, v15
	v_add_nc_u32_e32 v16, 0x200, v15
	;; [unrolled: 1-line block ×3, first 2 shown]
	s_wait_loadcnt 0x7
	ds_store_2addr_b32 v15, v0, v5 offset1:126
	s_wait_loadcnt 0x5
	ds_store_2addr_b32 v16, v6, v7 offset0:124 offset1:250
	s_wait_loadcnt 0x3
	ds_store_2addr_b32 v19, v8, v11 offset0:120 offset1:246
	;; [unrolled: 2-line block ×3, first 2 shown]
	s_wait_loadcnt 0x0
	ds_store_b32 v15, v14 offset:4032
.LBB0_13:
	s_or_b32 exec_lo, exec_lo, s1
	v_lshlrev_b32_e32 v14, 2, v17
	s_load_b64 s[2:3], s[2:3], 0x0
	global_wb scope:SCOPE_SE
	s_wait_dscnt 0x0
	s_wait_kmcnt 0x0
	s_barrier_signal -1
	s_barrier_wait -1
	v_add_nc_u32_e32 v0, 0, v14
	global_inv scope:SCOPE_SE
	v_lshl_add_u32 v13, v10, 3, 0
	s_mov_b32 s1, exec_lo
	v_add_nc_u32_e32 v11, 0x600, v0
	v_add_nc_u32_e32 v8, 0xa00, v0
	;; [unrolled: 1-line block ×4, first 2 shown]
	ds_load_2addr_b32 v[15:16], v0 offset1:126
	ds_load_2addr_b32 v[5:6], v11 offset0:120 offset1:183
	ds_load_2addr_b32 v[19:20], v8 offset0:53 offset1:179
	;; [unrolled: 1-line block ×4, first 2 shown]
	v_lshl_add_u32 v7, v18, 3, 0
	v_lshl_add_u32 v12, v9, 3, 0
	v_add_nc_u32_e32 v25, v0, v14
	global_wb scope:SCOPE_SE
	s_wait_dscnt 0x0
	s_barrier_signal -1
	s_barrier_wait -1
	global_inv scope:SCOPE_SE
	v_pk_add_f16 v26, v15, v6 neg_lo:[0,1] neg_hi:[0,1]
	v_pk_add_f16 v19, v16, v19 neg_lo:[0,1] neg_hi:[0,1]
	;; [unrolled: 1-line block ×5, first 2 shown]
	v_pk_fma_f16 v15, v15, 2.0, v26 op_sel_hi:[1,0,1] neg_lo:[0,0,1] neg_hi:[0,0,1]
	v_pk_fma_f16 v16, v16, 2.0, v19 op_sel_hi:[1,0,1] neg_lo:[0,0,1] neg_hi:[0,0,1]
	;; [unrolled: 1-line block ×4, first 2 shown]
	ds_store_2addr_b32 v25, v15, v26 offset1:1
	ds_store_2addr_b32 v7, v16, v19 offset1:1
	;; [unrolled: 1-line block ×4, first 2 shown]
	v_cmpx_gt_u32_e32 63, v17
	s_cbranch_execz .LBB0_15
; %bb.14:
	v_pk_fma_f16 v5, v5, 2.0, v6 op_sel_hi:[1,0,1] neg_lo:[0,0,1] neg_hi:[0,0,1]
	v_add3_u32 v14, v0, v14, 0xfc0
	ds_store_2addr_b32 v14, v5, v6 offset1:1
.LBB0_15:
	s_wait_alu 0xfffe
	s_or_b32 exec_lo, exec_lo, s1
	v_and_b32_e32 v16, 1, v17
	global_wb scope:SCOPE_SE
	s_wait_dscnt 0x0
	s_barrier_signal -1
	s_barrier_wait -1
	global_inv scope:SCOPE_SE
	v_lshlrev_b32_e32 v5, 3, v16
	v_lshlrev_b32_e32 v26, 2, v10
	ds_load_2addr_b32 v[21:22], v8 offset0:116 offset1:242
	ds_load_b32 v25, v0
	ds_load_2addr_b32 v[23:24], v11 offset0:120 offset1:246
	global_load_b64 v[19:20], v5, s[8:9]
	v_lshlrev_b32_e32 v5, 2, v9
	v_lshlrev_b32_e32 v9, 2, v18
	v_sub_nc_u32_e32 v13, v13, v26
	v_lshrrev_b32_e32 v27, 1, v17
	v_lshrrev_b32_e32 v28, 1, v18
	v_sub_nc_u32_e32 v12, v12, v5
	v_sub_nc_u32_e32 v5, v7, v9
	v_lshrrev_b32_e32 v29, 1, v10
	v_and_b32_e32 v14, 0xff, v17
	ds_load_b32 v33, v5
	ds_load_b32 v34, v13
	;; [unrolled: 1-line block ×3, first 2 shown]
	ds_load_b32 v36, v0 offset:4032
	v_mul_u32_u24_e32 v26, 6, v27
	v_mul_lo_u32 v27, v28, 6
	v_mul_lo_u32 v28, v29, 6
	v_mul_lo_u16 v29, 0xab, v14
	s_wait_dscnt 0x6
	v_lshrrev_b32_e32 v40, 16, v21
	v_and_b32_e32 v15, 0xff, v18
	v_and_b32_e32 v30, 0xffff, v10
	v_or_b32_e32 v26, v26, v16
	v_lshrrev_b16 v29, 10, v29
	v_or_b32_e32 v27, v27, v16
	v_or_b32_e32 v16, v28, v16
	s_wait_dscnt 0x4
	v_lshrrev_b32_e32 v41, 16, v23
	v_lshrrev_b32_e32 v42, 16, v22
	v_mul_lo_u16 v28, v29, 6
	v_lshrrev_b32_e32 v43, 16, v24
	v_mul_lo_u16 v31, 0xab, v15
	v_mul_u32_u24_e32 v32, 0xaaab, v30
	v_lshrrev_b32_e32 v39, 16, v25
	s_wait_dscnt 0x1
	v_lshrrev_b32_e32 v46, 16, v35
	s_wait_dscnt 0x0
	v_lshrrev_b32_e32 v47, 16, v36
	v_sub_nc_u16 v28, v17, v28
	v_lshrrev_b16 v31, 10, v31
	v_lshrrev_b32_e32 v32, 18, v32
	v_lshrrev_b32_e32 v45, 16, v34
	v_lshl_add_u32 v26, v26, 2, 0
	v_and_b32_e32 v44, 0xff, v28
	v_lshrrev_b32_e32 v28, 16, v33
	v_mul_lo_u16 v37, v31, 6
	v_mul_lo_u16 v38, v32, 6
	v_lshl_add_u32 v27, v27, 2, 0
	v_lshlrev_b32_e32 v49, 3, v44
	v_lshl_add_u32 v16, v16, 2, 0
	v_sub_nc_u16 v37, v18, v37
	v_sub_nc_u16 v38, v10, v38
	global_wb scope:SCOPE_SE
	s_wait_loadcnt 0x0
	s_barrier_signal -1
	s_barrier_wait -1
	v_and_b32_e32 v37, 0xff, v37
	v_and_b32_e32 v38, 0xffff, v38
	global_inv scope:SCOPE_SE
	v_lshlrev_b32_e32 v44, 2, v44
	v_cmp_gt_u32_e64 s0, 36, v17
	v_lshlrev_b32_e32 v51, 3, v37
	v_lshlrev_b32_e32 v52, 3, v38
	;; [unrolled: 1-line block ×4, first 2 shown]
	v_lshrrev_b32_e32 v48, 16, v19
	v_lshrrev_b32_e32 v50, 16, v20
	s_delay_alu instid0(VALU_DEP_2) | instskip(SKIP_1) | instid1(VALU_DEP_3)
	v_mul_f16_e32 v53, v48, v46
	v_mul_f16_e32 v54, v48, v35
	;; [unrolled: 1-line block ×12, first 2 shown]
	v_fmac_f16_e32 v53, v19, v35
	v_fma_f16 v35, v19, v46, -v54
	v_fmac_f16_e32 v55, v20, v21
	v_fma_f16 v21, v20, v40, -v56
	v_fmac_f16_e32 v57, v19, v23
	v_fma_f16 v23, v19, v41, -v58
	v_fmac_f16_e32 v59, v20, v22
	v_fma_f16 v22, v20, v42, -v60
	v_fmac_f16_e32 v61, v19, v24
	v_fma_f16 v19, v19, v43, -v48
	v_fmac_f16_e32 v62, v20, v36
	v_fma_f16 v20, v20, v47, -v50
	v_add_f16_e32 v36, v53, v55
	v_sub_f16_e32 v40, v35, v21
	v_add_f16_e32 v41, v39, v35
	v_add_f16_e32 v35, v35, v21
	;; [unrolled: 1-line block ×3, first 2 shown]
	v_sub_f16_e32 v47, v23, v22
	v_add_f16_e32 v48, v28, v23
	v_add_f16_e32 v23, v23, v22
	;; [unrolled: 1-line block ×3, first 2 shown]
	v_sub_f16_e32 v50, v57, v59
	v_add_f16_e32 v54, v61, v62
	v_sub_f16_e32 v56, v19, v20
	v_add_f16_e32 v57, v45, v19
	v_add_f16_e32 v19, v19, v20
	;; [unrolled: 1-line block ×3, first 2 shown]
	v_sub_f16_e32 v42, v53, v55
	v_fmac_f16_e32 v25, -0.5, v36
	v_fmac_f16_e32 v39, -0.5, v35
	v_add_f16_e32 v53, v34, v61
	v_fmac_f16_e32 v33, -0.5, v46
	v_fmac_f16_e32 v28, -0.5, v23
	v_sub_f16_e32 v58, v61, v62
	v_fmac_f16_e32 v34, -0.5, v54
	v_fmac_f16_e32 v45, -0.5, v19
	v_add_f16_e32 v24, v24, v55
	v_add_f16_e32 v21, v41, v21
	v_fmamk_f16 v19, v40, 0xbaee, v25
	v_fmamk_f16 v36, v42, 0x3aee, v39
	v_add_f16_e32 v23, v53, v62
	v_add_f16_e32 v20, v57, v20
	v_fmac_f16_e32 v25, 0x3aee, v40
	v_fmac_f16_e32 v39, 0xbaee, v42
	v_add_f16_e32 v35, v43, v59
	v_add_f16_e32 v22, v48, v22
	v_fmamk_f16 v40, v47, 0xbaee, v33
	v_fmamk_f16 v41, v50, 0x3aee, v28
	v_fmac_f16_e32 v33, 0x3aee, v47
	v_fmac_f16_e32 v28, 0xbaee, v50
	v_fmamk_f16 v42, v56, 0xbaee, v34
	v_fmamk_f16 v43, v58, 0x3aee, v45
	v_fmac_f16_e32 v34, 0x3aee, v56
	v_fmac_f16_e32 v45, 0xbaee, v58
	v_pack_b32_f16 v21, v24, v21
	v_pack_b32_f16 v19, v19, v36
	;; [unrolled: 1-line block ×9, first 2 shown]
	ds_store_2addr_b32 v26, v21, v19 offset1:2
	ds_store_b32 v26, v23 offset:16
	ds_store_2addr_b32 v27, v22, v24 offset1:2
	ds_store_b32 v27, v25 offset:16
	;; [unrolled: 2-line block ×3, first 2 shown]
	global_wb scope:SCOPE_SE
	s_wait_dscnt 0x0
	s_barrier_signal -1
	s_barrier_wait -1
	global_inv scope:SCOPE_SE
	s_clause 0x2
	global_load_b64 v[19:20], v49, s[8:9] offset:16
	global_load_b64 v[21:22], v51, s[8:9] offset:16
	;; [unrolled: 1-line block ×3, first 2 shown]
	v_mul_lo_u16 v16, v14, 57
	v_mul_lo_u16 v25, v15, 57
	v_mul_u32_u24_e32 v26, 0xe38f, v30
	v_and_b32_e32 v28, 0xffff, v31
	ds_load_b32 v36, v0
	ds_load_b32 v39, v5
	;; [unrolled: 1-line block ×4, first 2 shown]
	ds_load_b32 v42, v0 offset:4032
	v_lshrrev_b16 v16, 10, v16
	v_lshrrev_b16 v30, 10, v25
	v_lshrrev_b32_e32 v33, 20, v26
	v_and_b32_e32 v25, 0xffff, v29
	v_mul_u32_u24_e32 v29, 0x48, v32
	v_mul_lo_u16 v26, v16, 18
	v_mul_lo_u16 v27, v30, 18
	;; [unrolled: 1-line block ×3, first 2 shown]
	v_mul_u32_u24_e32 v32, 0x48, v25
	v_mul_u32_u24_e32 v34, 0x48, v28
	v_sub_nc_u16 v26, v17, v26
	v_sub_nc_u16 v27, v18, v27
	;; [unrolled: 1-line block ×3, first 2 shown]
	v_add3_u32 v29, 0, v29, v38
	v_add3_u32 v34, 0, v34, v37
	v_and_b32_e32 v31, 0xff, v26
	v_and_b32_e32 v35, 0xff, v27
	;; [unrolled: 1-line block ×3, first 2 shown]
	ds_load_2addr_b32 v[25:26], v8 offset0:116 offset1:242
	ds_load_2addr_b32 v[27:28], v11 offset0:120 offset1:246
	s_wait_dscnt 0x3
	v_lshrrev_b32_e32 v49, 16, v41
	s_wait_dscnt 0x2
	v_lshrrev_b32_e32 v48, 16, v42
	v_lshrrev_b32_e32 v37, 16, v36
	;; [unrolled: 1-line block ×3, first 2 shown]
	v_add3_u32 v32, 0, v32, v44
	v_lshrrev_b32_e32 v44, 16, v40
	v_lshlrev_b32_e32 v45, 3, v31
	v_lshlrev_b32_e32 v46, 3, v35
	;; [unrolled: 1-line block ×3, first 2 shown]
	global_wb scope:SCOPE_SE
	s_wait_loadcnt_dscnt 0x0
	s_barrier_signal -1
	s_barrier_wait -1
	global_inv scope:SCOPE_SE
	v_mul_lo_u16 v14, v14, 19
	v_mul_lo_u16 v15, v15, 19
	v_lshlrev_b32_e32 v31, 2, v31
	v_lshlrev_b32_e32 v35, 2, v35
	v_lshrrev_b32_e32 v50, 16, v25
	v_lshrrev_b32_e32 v51, 16, v27
	v_lshrrev_b32_e32 v52, 16, v26
	v_lshrrev_b32_e32 v53, 16, v28
	v_lshrrev_b32_e32 v54, 16, v19
	v_lshrrev_b32_e32 v55, 16, v20
	v_lshrrev_b32_e32 v56, 16, v21
	v_lshrrev_b32_e32 v57, 16, v22
	v_lshrrev_b32_e32 v58, 16, v23
	v_lshrrev_b32_e32 v59, 16, v24
	v_mul_f16_e32 v60, v54, v49
	v_mul_f16_e32 v54, v54, v41
	;; [unrolled: 1-line block ×12, first 2 shown]
	v_fmac_f16_e32 v60, v19, v41
	v_fma_f16 v19, v19, v49, -v54
	v_fmac_f16_e32 v61, v20, v25
	v_fma_f16 v20, v20, v50, -v55
	;; [unrolled: 2-line block ×6, first 2 shown]
	v_add_f16_e32 v26, v60, v61
	v_sub_f16_e32 v27, v19, v20
	v_add_f16_e32 v28, v37, v19
	v_add_f16_e32 v19, v19, v20
	v_add_f16_e32 v48, v62, v63
	v_sub_f16_e32 v49, v21, v22
	v_add_f16_e32 v50, v38, v21
	v_add_f16_e32 v21, v21, v22
	v_add_f16_e32 v53, v64, v65
	v_sub_f16_e32 v54, v23, v24
	v_add_f16_e32 v55, v44, v23
	v_add_f16_e32 v23, v23, v24
	v_add_f16_e32 v25, v36, v60
	v_sub_f16_e32 v41, v60, v61
	v_add_f16_e32 v42, v39, v62
	v_fmac_f16_e32 v36, -0.5, v26
	v_fmac_f16_e32 v37, -0.5, v19
	v_sub_f16_e32 v51, v62, v63
	v_add_f16_e32 v52, v40, v64
	v_fmac_f16_e32 v39, -0.5, v48
	v_fmac_f16_e32 v38, -0.5, v21
	v_sub_f16_e32 v56, v64, v65
	v_fmac_f16_e32 v40, -0.5, v53
	v_fmac_f16_e32 v44, -0.5, v23
	v_add_f16_e32 v25, v25, v61
	v_add_f16_e32 v20, v28, v20
	;; [unrolled: 1-line block ×4, first 2 shown]
	v_fmamk_f16 v23, v27, 0xbaee, v36
	v_fmamk_f16 v26, v41, 0x3aee, v37
	v_fmac_f16_e32 v36, 0x3aee, v27
	v_fmac_f16_e32 v37, 0xbaee, v41
	v_add_f16_e32 v21, v52, v65
	v_add_f16_e32 v24, v55, v24
	v_fmamk_f16 v27, v49, 0xbaee, v39
	v_fmamk_f16 v28, v51, 0x3aee, v38
	v_fmac_f16_e32 v39, 0x3aee, v49
	v_fmac_f16_e32 v38, 0xbaee, v51
	v_fmamk_f16 v41, v54, 0xbaee, v40
	v_fmamk_f16 v42, v56, 0x3aee, v44
	v_fmac_f16_e32 v40, 0x3aee, v54
	v_fmac_f16_e32 v44, 0xbaee, v56
	v_pack_b32_f16 v20, v25, v20
	v_pack_b32_f16 v19, v19, v22
	;; [unrolled: 1-line block ×9, first 2 shown]
	ds_store_2addr_b32 v32, v20, v22 offset1:6
	ds_store_b32 v32, v23 offset:48
	ds_store_2addr_b32 v34, v19, v24 offset1:6
	ds_store_b32 v34, v25 offset:48
	;; [unrolled: 2-line block ×3, first 2 shown]
	global_wb scope:SCOPE_SE
	s_wait_dscnt 0x0
	s_barrier_signal -1
	s_barrier_wait -1
	global_inv scope:SCOPE_SE
	s_clause 0x2
	global_load_b64 v[19:20], v45, s[8:9] offset:64
	global_load_b64 v[21:22], v46, s[8:9] offset:64
	;; [unrolled: 1-line block ×3, first 2 shown]
	v_lshrrev_b16 v25, 1, v10
	v_lshrrev_b16 v27, 10, v14
	;; [unrolled: 1-line block ×3, first 2 shown]
	v_and_b32_e32 v15, 0xffff, v16
	ds_load_b32 v36, v0
	ds_load_b32 v37, v5
	;; [unrolled: 1-line block ×4, first 2 shown]
	ds_load_b32 v40, v0 offset:4032
	v_and_b32_e32 v25, 0xffff, v25
	v_lshlrev_b32_e32 v41, 2, v43
	v_mul_lo_u16 v16, v27, 54
	v_mul_u32_u24_e32 v32, 0xd8, v15
	s_delay_alu instid0(VALU_DEP_4) | instskip(SKIP_1) | instid1(VALU_DEP_4)
	v_mul_u32_u24_e32 v14, 0x97b5, v25
	v_mul_lo_u16 v25, v28, 54
	v_sub_nc_u16 v16, v17, v16
	s_delay_alu instid0(VALU_DEP_4) | instskip(NEXT) | instid1(VALU_DEP_4)
	v_add3_u32 v31, 0, v32, v31
	v_lshrrev_b32_e32 v29, 20, v14
	v_and_b32_e32 v14, 0xffff, v30
	v_sub_nc_u16 v25, v18, v25
	v_mul_u32_u24_e32 v30, 0xd8, v33
	v_and_b32_e32 v16, 0xff, v16
	v_mul_lo_u16 v26, v29, 54
	v_mul_u32_u24_e32 v33, 0xd8, v14
	v_and_b32_e32 v34, 0xff, v25
	s_wait_dscnt 0x1
	v_lshrrev_b32_e32 v46, 16, v39
	s_wait_dscnt 0x0
	v_lshrrev_b32_e32 v45, 16, v40
	v_sub_nc_u16 v10, v10, v26
	ds_load_2addr_b32 v[14:15], v8 offset0:116 offset1:242
	ds_load_2addr_b32 v[25:26], v11 offset0:120 offset1:246
	v_add3_u32 v32, 0, v33, v35
	v_lshrrev_b32_e32 v35, 16, v36
	v_add3_u32 v30, 0, v30, v41
	v_lshrrev_b32_e32 v41, 16, v37
	v_lshrrev_b32_e32 v44, 16, v38
	v_and_b32_e32 v43, 0xffff, v10
	v_lshlrev_b32_e32 v42, 3, v16
	v_lshlrev_b32_e32 v10, 3, v34
	global_wb scope:SCOPE_SE
	s_wait_loadcnt_dscnt 0x0
	s_barrier_signal -1
	v_lshlrev_b32_e32 v33, 3, v43
	s_barrier_wait -1
	global_inv scope:SCOPE_SE
	v_lshlrev_b32_e32 v16, 2, v16
	v_mul_u32_u24_e32 v29, 0x288, v29
	v_lshrrev_b32_e32 v47, 16, v14
	v_lshrrev_b32_e32 v48, 16, v25
	;; [unrolled: 1-line block ×10, first 2 shown]
	v_mul_f16_e32 v57, v51, v46
	v_mul_f16_e32 v51, v51, v39
	;; [unrolled: 1-line block ×12, first 2 shown]
	v_fmac_f16_e32 v57, v19, v39
	v_fma_f16 v19, v19, v46, -v51
	v_fmac_f16_e32 v58, v20, v14
	v_fma_f16 v14, v20, v47, -v52
	;; [unrolled: 2-line block ×6, first 2 shown]
	v_add_f16_e32 v24, v57, v58
	v_sub_f16_e32 v25, v19, v14
	v_add_f16_e32 v26, v35, v19
	v_add_f16_e32 v19, v19, v14
	v_add_f16_e32 v45, v59, v60
	v_sub_f16_e32 v46, v20, v15
	v_add_f16_e32 v47, v41, v20
	v_add_f16_e32 v20, v20, v15
	;; [unrolled: 4-line block ×4, first 2 shown]
	v_fmac_f16_e32 v36, -0.5, v24
	v_fmac_f16_e32 v35, -0.5, v19
	v_sub_f16_e32 v48, v59, v60
	v_fmac_f16_e32 v37, -0.5, v45
	v_fmac_f16_e32 v41, -0.5, v20
	v_sub_f16_e32 v53, v61, v62
	v_fmac_f16_e32 v38, -0.5, v50
	v_fmac_f16_e32 v44, -0.5, v21
	v_add_f16_e32 v23, v23, v58
	v_add_f16_e32 v14, v26, v14
	;; [unrolled: 1-line block ×6, first 2 shown]
	v_fmamk_f16 v21, v25, 0xbaee, v36
	v_fmamk_f16 v24, v39, 0x3aee, v35
	v_fmac_f16_e32 v36, 0x3aee, v25
	v_fmac_f16_e32 v35, 0xbaee, v39
	v_fmamk_f16 v25, v46, 0xbaee, v37
	v_fmamk_f16 v26, v48, 0x3aee, v41
	v_fmac_f16_e32 v37, 0x3aee, v46
	v_fmac_f16_e32 v41, 0xbaee, v48
	;; [unrolled: 4-line block ×3, first 2 shown]
	v_pack_b32_f16 v14, v23, v14
	v_pack_b32_f16 v15, v19, v15
	;; [unrolled: 1-line block ×9, first 2 shown]
	ds_store_2addr_b32 v31, v14, v20 offset1:18
	ds_store_b32 v31, v21 offset:144
	ds_store_2addr_b32 v32, v15, v22 offset1:18
	ds_store_b32 v32, v23 offset:144
	;; [unrolled: 2-line block ×3, first 2 shown]
	global_wb scope:SCOPE_SE
	s_wait_dscnt 0x0
	s_barrier_signal -1
	s_barrier_wait -1
	global_inv scope:SCOPE_SE
	s_clause 0x2
	global_load_b64 v[14:15], v42, s[8:9] offset:208
	global_load_b64 v[20:21], v10, s[8:9] offset:208
	;; [unrolled: 1-line block ×3, first 2 shown]
	v_and_b32_e32 v10, 0xffff, v27
	v_and_b32_e32 v19, 0xffff, v28
	ds_load_b32 v25, v0
	ds_load_b32 v26, v5
	;; [unrolled: 1-line block ×4, first 2 shown]
	ds_load_b32 v30, v0 offset:4032
	v_lshlrev_b32_e32 v31, 2, v34
	v_lshlrev_b32_e32 v32, 2, v43
	v_mul_u32_u24_e32 v24, 0x288, v10
	ds_load_2addr_b32 v[12:13], v8 offset0:116 offset1:242
	ds_load_2addr_b32 v[10:11], v11 offset0:120 offset1:246
	v_mul_u32_u24_e32 v19, 0x288, v19
	v_add_nc_u32_e32 v27, 0x400, v0
	v_add3_u32 v29, 0, v29, v32
	v_add3_u32 v16, 0, v24, v16
	global_wb scope:SCOPE_SE
	s_wait_loadcnt_dscnt 0x0
	v_add3_u32 v24, 0, v19, v31
	s_barrier_signal -1
	s_barrier_wait -1
	global_inv scope:SCOPE_SE
	v_lshrrev_b32_e32 v31, 16, v25
	v_lshrrev_b32_e32 v32, 16, v26
	;; [unrolled: 1-line block ×15, first 2 shown]
	v_mul_f16_e32 v45, v39, v34
	v_mul_f16_e32 v39, v39, v28
	;; [unrolled: 1-line block ×12, first 2 shown]
	v_fmac_f16_e32 v45, v14, v28
	v_fma_f16 v14, v14, v34, -v39
	v_fmac_f16_e32 v46, v15, v12
	v_fma_f16 v12, v15, v35, -v40
	;; [unrolled: 2-line block ×6, first 2 shown]
	v_add_f16_e32 v21, v45, v46
	v_sub_f16_e32 v22, v14, v12
	v_add_f16_e32 v23, v31, v14
	v_add_f16_e32 v14, v14, v12
	v_add_f16_e32 v33, v47, v48
	v_sub_f16_e32 v34, v10, v13
	v_add_f16_e32 v35, v32, v10
	v_add_f16_e32 v10, v10, v13
	;; [unrolled: 4-line block ×3, first 2 shown]
	v_add_f16_e32 v20, v25, v45
	v_sub_f16_e32 v28, v45, v46
	v_fmac_f16_e32 v25, -0.5, v21
	v_fmac_f16_e32 v31, -0.5, v14
	v_add_f16_e32 v30, v26, v47
	v_sub_f16_e32 v36, v47, v48
	v_add_f16_e32 v37, v5, v49
	v_fmac_f16_e32 v26, -0.5, v33
	v_fmac_f16_e32 v32, -0.5, v10
	v_sub_f16_e32 v41, v49, v50
	v_fmac_f16_e32 v5, -0.5, v38
	v_fmac_f16_e32 v19, -0.5, v11
	v_add_f16_e32 v42, v20, v46
	v_add_f16_e32 v12, v23, v12
	v_fmamk_f16 v11, v22, 0xbaee, v25
	v_fmac_f16_e32 v25, 0x3aee, v22
	v_fmamk_f16 v22, v28, 0x3aee, v31
	v_add_f16_e32 v14, v30, v48
	v_add_f16_e32 v13, v35, v13
	v_fmac_f16_e32 v31, 0xbaee, v28
	v_add_f16_e32 v10, v37, v50
	v_add_f16_e32 v15, v40, v15
	v_fmamk_f16 v23, v34, 0xbaee, v26
	v_fmamk_f16 v28, v36, 0x3aee, v32
	v_fmac_f16_e32 v26, 0x3aee, v34
	v_fmac_f16_e32 v32, 0xbaee, v36
	v_fmamk_f16 v20, v39, 0xbaee, v5
	v_fmamk_f16 v21, v41, 0x3aee, v19
	v_fmac_f16_e32 v5, 0x3aee, v39
	v_fmac_f16_e32 v19, 0xbaee, v41
	v_pack_b32_f16 v12, v42, v12
	v_pack_b32_f16 v11, v11, v22
	;; [unrolled: 1-line block ×9, first 2 shown]
	ds_store_2addr_b32 v16, v12, v11 offset1:54
	ds_store_b32 v16, v14 offset:432
	ds_store_2addr_b32 v24, v13, v15 offset1:54
	ds_store_b32 v24, v22 offset:432
	;; [unrolled: 2-line block ×3, first 2 shown]
	global_wb scope:SCOPE_SE
	s_wait_dscnt 0x0
	s_barrier_signal -1
	s_barrier_wait -1
	global_inv scope:SCOPE_SE
	ds_load_2addr_b32 v[11:12], v0 offset1:162
	ds_load_2addr_b32 v[15:16], v27 offset0:68 offset1:230
	ds_load_2addr_b32 v[13:14], v8 offset0:8 offset1:170
	ds_load_b32 v28, v0 offset:3888
	v_lshrrev_b32_e32 v22, 16, v6
                                        ; implicit-def: $vgpr23
                                        ; implicit-def: $vgpr8
                                        ; implicit-def: $vgpr26
                                        ; implicit-def: $vgpr10
                                        ; implicit-def: $vgpr24
                                        ; implicit-def: $vgpr25
	s_and_saveexec_b32 s1, s0
	s_cbranch_execz .LBB0_17
; %bb.16:
	v_sub_nc_u32_e32 v5, 0, v9
	v_add_nc_u32_e32 v6, 0x900, v0
	v_add_nc_u32_e32 v9, 0xe00, v0
	s_delay_alu instid0(VALU_DEP_3)
	v_add_nc_u32_e32 v5, v7, v5
	ds_load_2addr_b32 v[7:8], v6 offset0:36 offset1:198
	ds_load_2addr_b32 v[9:10], v9 offset0:40 offset1:202
	ds_load_b32 v20, v5
	ds_load_2addr_b32 v[5:6], v27 offset0:32 offset1:194
	ds_load_u16 v22, v0 offset:1802
	s_wait_dscnt 0x4
	v_lshrrev_b32_e32 v25, 16, v7
	v_lshrrev_b32_e32 v23, 16, v8
	s_wait_dscnt 0x3
	v_lshrrev_b32_e32 v24, 16, v9
	v_lshrrev_b32_e32 v26, 16, v10
	s_wait_dscnt 0x2
	v_lshrrev_b32_e32 v21, 16, v20
	s_wait_dscnt 0x1
	v_lshrrev_b32_e32 v19, 16, v5
.LBB0_17:
	s_wait_alu 0xfffe
	s_or_b32 exec_lo, exec_lo, s1
	v_mul_u32_u24_e32 v29, 6, v17
	s_wait_dscnt 0x0
	v_lshrrev_b32_e32 v35, 16, v28
	v_lshrrev_b32_e32 v36, 16, v14
	;; [unrolled: 1-line block ×4, first 2 shown]
	v_lshlrev_b32_e32 v33, 2, v29
	v_lshrrev_b32_e32 v40, 16, v12
	v_lshrrev_b32_e32 v38, 16, v16
	;; [unrolled: 1-line block ×3, first 2 shown]
	v_add_nc_u32_e32 v42, 0xa00, v0
	s_clause 0x1
	global_load_b128 v[29:32], v33, s[8:9] offset:640
	global_load_b64 v[33:34], v33, s[8:9] offset:656
	global_wb scope:SCOPE_SE
	s_wait_loadcnt 0x0
	s_barrier_signal -1
	s_barrier_wait -1
	global_inv scope:SCOPE_SE
	v_lshrrev_b32_e32 v43, 16, v29
	v_lshrrev_b32_e32 v44, 16, v30
	;; [unrolled: 1-line block ×6, first 2 shown]
	v_mul_f16_e32 v49, v43, v40
	v_mul_f16_e32 v43, v43, v12
	;; [unrolled: 1-line block ×12, first 2 shown]
	v_fmac_f16_e32 v49, v29, v12
	v_fma_f16 v12, v29, v40, -v43
	v_fmac_f16_e32 v50, v30, v15
	v_fma_f16 v15, v30, v39, -v44
	v_fmac_f16_e32 v52, v32, v13
	v_fmac_f16_e32 v54, v34, v28
	v_fma_f16 v13, v34, v35, -v48
	v_fmac_f16_e32 v53, v33, v14
	v_fma_f16 v14, v33, v36, -v47
	;; [unrolled: 2-line block ×3, first 2 shown]
	v_fma_f16 v28, v32, v37, -v46
	v_add_f16_e32 v29, v49, v54
	v_add_f16_e32 v30, v12, v13
	v_sub_f16_e32 v12, v12, v13
	v_add_f16_e32 v13, v50, v53
	v_add_f16_e32 v32, v15, v14
	v_sub_f16_e32 v33, v50, v53
	v_sub_f16_e32 v14, v15, v14
	v_add_f16_e32 v15, v51, v52
	v_add_f16_e32 v34, v16, v28
	v_sub_f16_e32 v35, v52, v51
	;; [unrolled: 4-line block ×3, first 2 shown]
	v_sub_f16_e32 v37, v13, v29
	v_sub_f16_e32 v38, v32, v30
	;; [unrolled: 1-line block ×6, first 2 shown]
	v_add_f16_e32 v39, v35, v33
	v_add_f16_e32 v40, v16, v14
	v_sub_f16_e32 v43, v35, v33
	v_sub_f16_e32 v44, v16, v14
	;; [unrolled: 1-line block ×3, first 2 shown]
	v_add_f16_e32 v15, v15, v28
	v_add_f16_e32 v28, v34, v36
	v_sub_f16_e32 v33, v33, v31
	v_sub_f16_e32 v35, v31, v35
	;; [unrolled: 1-line block ×3, first 2 shown]
	v_add_f16_e32 v31, v39, v31
	v_add_f16_e32 v12, v40, v12
	v_mul_f16_e32 v29, 0x3a52, v29
	v_mul_f16_e32 v30, 0x3a52, v30
	;; [unrolled: 1-line block ×7, first 2 shown]
	v_add_f16_e32 v11, v15, v11
	v_add_f16_e32 v41, v28, v41
	v_mul_f16_e32 v43, 0xbb00, v33
	v_fmamk_f16 v13, v13, 0x2b26, v29
	v_fmamk_f16 v32, v32, 0x2b26, v30
	v_fma_f16 v34, v37, 0x39e0, -v34
	v_fma_f16 v36, v38, 0x39e0, -v36
	;; [unrolled: 1-line block ×4, first 2 shown]
	v_fmamk_f16 v37, v35, 0xb574, v39
	v_fmamk_f16 v38, v16, 0xb574, v40
	v_fma_f16 v14, v14, 0xbb00, -v40
	v_fma_f16 v16, v16, 0x3574, -v44
	v_fmamk_f16 v15, v15, 0xbcab, v11
	v_fmamk_f16 v28, v28, 0xbcab, v41
	v_fma_f16 v33, v33, 0xbb00, -v39
	v_fma_f16 v35, v35, 0x3574, -v43
	v_fmac_f16_e32 v37, 0xb70e, v31
	v_fmac_f16_e32 v38, 0xb70e, v12
	;; [unrolled: 1-line block ×4, first 2 shown]
	v_add_f16_e32 v12, v13, v15
	v_add_f16_e32 v13, v32, v28
	v_fmac_f16_e32 v33, 0xb70e, v31
	v_fmac_f16_e32 v35, 0xb70e, v31
	v_add_f16_e32 v31, v34, v15
	v_add_f16_e32 v15, v29, v15
	;; [unrolled: 1-line block ×5, first 2 shown]
	v_sub_f16_e32 v32, v13, v37
	v_add_f16_e32 v34, v16, v15
	v_sub_f16_e32 v36, v29, v35
	v_sub_f16_e32 v39, v31, v14
	v_add_f16_e32 v40, v33, v28
	v_add_f16_e32 v14, v14, v31
	v_sub_f16_e32 v28, v28, v33
	v_sub_f16_e32 v15, v15, v16
	v_add_f16_e32 v16, v35, v29
	v_sub_f16_e32 v12, v12, v38
	v_add_f16_e32 v13, v37, v13
	v_pack_b32_f16 v11, v11, v41
	v_pack_b32_f16 v29, v30, v32
	;; [unrolled: 1-line block ×7, first 2 shown]
	ds_store_2addr_b32 v0, v11, v29 offset1:162
	ds_store_2addr_b32 v27, v30, v31 offset0:68 offset1:230
	ds_store_2addr_b32 v42, v14, v15 offset0:8 offset1:170
	ds_store_b32 v0, v12 offset:3888
	s_and_saveexec_b32 s1, s0
	s_cbranch_execz .LBB0_19
; %bb.18:
	v_subrev_nc_u32_e32 v11, 36, v17
	v_dual_mov_b32 v12, 0 :: v_dual_add_nc_u32 v27, 0x600, v0
	v_add_nc_u32_e32 v28, 0xc00, v0
	s_delay_alu instid0(VALU_DEP_3) | instskip(SKIP_1) | instid1(VALU_DEP_2)
	v_cndmask_b32_e64 v11, v11, v18, s0
	v_add_nc_u32_e32 v18, 0x100, v0
	v_mul_i32_i24_e32 v11, 6, v11
	s_delay_alu instid0(VALU_DEP_1) | instskip(NEXT) | instid1(VALU_DEP_1)
	v_lshlrev_b64_e32 v[11:12], 2, v[11:12]
	v_add_co_u32 v15, s0, s8, v11
	s_wait_alu 0xf1ff
	s_delay_alu instid0(VALU_DEP_2)
	v_add_co_ci_u32_e64 v16, s0, s9, v12, s0
	s_clause 0x1
	global_load_b128 v[11:14], v[15:16], off offset:640
	global_load_b64 v[15:16], v[15:16], off offset:656
	s_wait_loadcnt 0x1
	v_lshrrev_b32_e32 v29, 16, v11
	v_lshrrev_b32_e32 v30, 16, v12
	s_wait_loadcnt 0x0
	v_lshrrev_b32_e32 v31, 16, v16
	v_lshrrev_b32_e32 v34, 16, v15
	v_lshrrev_b32_e32 v32, 16, v14
	v_lshrrev_b32_e32 v33, 16, v13
	v_mul_f16_e32 v35, v19, v29
	v_mul_f16_e32 v36, v26, v31
	;; [unrolled: 1-line block ×12, first 2 shown]
	v_fmac_f16_e32 v35, v5, v11
	v_fmac_f16_e32 v36, v10, v16
	;; [unrolled: 1-line block ×4, first 2 shown]
	v_fma_f16 v5, v26, v16, -v31
	v_fma_f16 v6, v19, v11, -v29
	;; [unrolled: 1-line block ×4, first 2 shown]
	v_fmac_f16_e32 v37, v8, v14
	v_fmac_f16_e32 v38, v7, v13
	v_fma_f16 v7, v25, v13, -v33
	v_fma_f16 v8, v23, v14, -v32
	v_add_f16_e32 v14, v6, v5
	v_add_f16_e32 v16, v10, v9
	;; [unrolled: 1-line block ×4, first 2 shown]
	v_sub_f16_e32 v11, v35, v36
	v_sub_f16_e32 v12, v37, v38
	;; [unrolled: 1-line block ×3, first 2 shown]
	v_add_f16_e32 v15, v7, v8
	v_add_f16_e32 v22, v38, v37
	v_sub_f16_e32 v5, v6, v5
	v_sub_f16_e32 v6, v8, v7
	;; [unrolled: 1-line block ×3, first 2 shown]
	v_add_f16_e32 v25, v16, v14
	v_add_f16_e32 v30, v23, v19
	v_sub_f16_e32 v8, v11, v12
	v_sub_f16_e32 v9, v12, v13
	v_add_f16_e32 v10, v12, v13
	v_sub_f16_e32 v12, v14, v15
	v_sub_f16_e32 v24, v15, v16
	;; [unrolled: 1-line block ×6, first 2 shown]
	v_add_f16_e32 v6, v6, v7
	v_sub_f16_e32 v13, v13, v11
	v_add_f16_e32 v15, v15, v25
	v_add_f16_e32 v22, v22, v30
	v_sub_f16_e32 v7, v7, v5
	v_sub_f16_e32 v14, v16, v14
	;; [unrolled: 1-line block ×3, first 2 shown]
	v_mul_f16_e32 v9, 0x3846, v9
	v_add_f16_e32 v10, v10, v11
	v_mul_f16_e32 v11, 0x3a52, v12
	v_mul_f16_e32 v12, 0x2b26, v24
	;; [unrolled: 1-line block ×4, first 2 shown]
	v_add_f16_e32 v5, v6, v5
	v_mul_f16_e32 v6, 0xbb00, v13
	v_add_f16_e32 v21, v21, v15
	v_add_f16_e32 v20, v20, v22
	v_mul_f16_e32 v23, 0x2b26, v29
	v_mul_f16_e32 v26, 0xbb00, v7
	v_fmamk_f16 v30, v8, 0xb574, v9
	v_fmamk_f16 v24, v24, 0x2b26, v11
	;; [unrolled: 1-line block ×4, first 2 shown]
	v_fma_f16 v6, v8, 0x3574, -v6
	v_fma_f16 v8, v14, 0xb9e0, -v11
	;; [unrolled: 1-line block ×4, first 2 shown]
	v_fmamk_f16 v14, v15, 0xbcab, v21
	v_fmamk_f16 v15, v22, 0xbcab, v20
	v_fma_f16 v11, v16, 0xb9e0, -v19
	v_fma_f16 v19, v31, 0x3574, -v26
	;; [unrolled: 1-line block ×4, first 2 shown]
	v_fmac_f16_e32 v30, 0xb70e, v10
	v_fmac_f16_e32 v32, 0xb70e, v5
	;; [unrolled: 1-line block ×4, first 2 shown]
	v_add_f16_e32 v10, v24, v14
	v_add_f16_e32 v16, v29, v15
	;; [unrolled: 1-line block ×3, first 2 shown]
	v_fmac_f16_e32 v19, 0xb70e, v5
	v_fmac_f16_e32 v7, 0xb70e, v5
	v_add_f16_e32 v11, v11, v15
	v_add_f16_e32 v12, v12, v14
	;; [unrolled: 1-line block ×3, first 2 shown]
	v_pack_b32_f16 v5, v20, v21
	v_add_f16_e32 v14, v30, v10
	v_add_f16_e32 v20, v6, v8
	v_sub_f16_e32 v6, v8, v6
	v_sub_f16_e32 v8, v10, v30
	v_add_f16_e32 v10, v32, v16
	v_sub_f16_e32 v15, v16, v32
	v_sub_f16_e32 v21, v12, v9
	v_add_f16_e32 v9, v9, v12
	v_add_f16_e32 v12, v19, v11
	v_sub_f16_e32 v16, v13, v7
	v_add_f16_e32 v7, v7, v13
	v_sub_f16_e32 v11, v11, v19
	v_pack_b32_f16 v8, v10, v8
	v_pack_b32_f16 v6, v12, v6
	;; [unrolled: 1-line block ×6, first 2 shown]
	ds_store_2addr_b32 v18, v5, v8 offset0:62 offset1:224
	ds_store_2addr_b32 v27, v6, v9 offset0:66 offset1:228
	;; [unrolled: 1-line block ×3, first 2 shown]
	ds_store_b32 v0, v11 offset:4392
.LBB0_19:
	s_wait_alu 0xfffe
	s_or_b32 exec_lo, exec_lo, s1
	global_wb scope:SCOPE_SE
	s_wait_dscnt 0x0
	s_barrier_signal -1
	s_barrier_wait -1
	global_inv scope:SCOPE_SE
	s_and_saveexec_b32 s0, vcc_lo
	s_cbranch_execz .LBB0_21
; %bb.20:
	v_mul_lo_u32 v0, s3, v3
	v_mul_lo_u32 v7, s2, v4
	v_mad_co_u64_u32 v[3:4], null, s2, v3, 0
	v_mad_co_u64_u32 v[5:6], null, s16, v17, 0
	v_lshlrev_b64_e32 v[1:2], 2, v[1:2]
	v_lshl_add_u32 v20, v17, 2, 0
	v_add_nc_u32_e32 v11, 0x7e, v17
	v_add_nc_u32_e32 v12, 0xfc, v17
	v_add3_u32 v4, v4, v7, v0
	v_add_nc_u32_e32 v14, 0x17a, v17
	v_mov_b32_e32 v0, v6
	ds_load_2addr_b32 v[9:10], v20 offset1:126
	v_add_nc_u32_e32 v18, 0x2f4, v17
	v_lshlrev_b64_e32 v[3:4], 2, v[3:4]
	v_add_nc_u32_e32 v15, 0x276, v17
	v_mad_co_u64_u32 v[6:7], null, s17, v17, v[0:1]
	v_mad_co_u64_u32 v[7:8], null, s16, v11, 0
	s_delay_alu instid0(VALU_DEP_4) | instskip(SKIP_3) | instid1(VALU_DEP_3)
	v_add_co_u32 v0, vcc_lo, s6, v3
	s_wait_alu 0xfffd
	v_add_co_ci_u32_e32 v13, vcc_lo, s7, v4, vcc_lo
	v_mad_co_u64_u32 v[3:4], null, s16, v12, 0
	v_add_co_u32 v21, vcc_lo, v0, v1
	s_wait_alu 0xfffd
	s_delay_alu instid0(VALU_DEP_3) | instskip(SKIP_2) | instid1(VALU_DEP_1)
	v_add_co_ci_u32_e32 v22, vcc_lo, v13, v2, vcc_lo
	v_lshlrev_b64_e32 v[1:2], 2, v[5:6]
	v_dual_mov_b32 v0, v8 :: v_dual_add_nc_u32 v23, 0x372, v17
	v_mad_co_u64_u32 v[5:6], null, s17, v11, v[0:1]
	v_add_co_u32 v0, vcc_lo, v21, v1
	s_wait_alu 0xfffd
	s_delay_alu instid0(VALU_DEP_4) | instskip(NEXT) | instid1(VALU_DEP_3)
	v_add_co_ci_u32_e32 v1, vcc_lo, v22, v2, vcc_lo
	v_mad_co_u64_u32 v[11:12], null, s17, v12, v[4:5]
	v_mad_co_u64_u32 v[12:13], null, s16, v14, 0
	v_mov_b32_e32 v8, v5
	s_wait_dscnt 0x0
	global_store_b32 v[0:1], v9, off
	v_dual_mov_b32 v4, v11 :: v_dual_add_nc_u32 v9, 0x1f8, v17
	v_lshlrev_b64_e32 v[0:1], 2, v[7:8]
	v_mov_b32_e32 v2, v13
	v_add_nc_u32_e32 v8, 0x200, v20
	s_delay_alu instid0(VALU_DEP_3) | instskip(NEXT) | instid1(VALU_DEP_3)
	v_add_co_u32 v0, vcc_lo, v21, v0
	v_mad_co_u64_u32 v[5:6], null, s17, v14, v[2:3]
	s_wait_alu 0xfffd
	v_add_co_ci_u32_e32 v1, vcc_lo, v22, v1, vcc_lo
	v_mad_co_u64_u32 v[6:7], null, s16, v9, 0
	v_lshlrev_b64_e32 v[2:3], 2, v[3:4]
	global_store_b32 v[0:1], v10, off
	ds_load_2addr_b32 v[0:1], v8 offset0:124 offset1:250
	v_dual_mov_b32 v13, v5 :: v_dual_mov_b32 v4, v7
	v_add_co_u32 v2, vcc_lo, v21, v2
	s_delay_alu instid0(VALU_DEP_2) | instskip(SKIP_3) | instid1(VALU_DEP_3)
	v_lshlrev_b64_e32 v[7:8], 2, v[12:13]
	s_wait_alu 0xfffd
	v_add_co_ci_u32_e32 v3, vcc_lo, v22, v3, vcc_lo
	v_mad_co_u64_u32 v[11:12], null, s16, v18, 0
	v_add_co_u32 v13, vcc_lo, v21, v7
	s_wait_alu 0xfffd
	v_add_co_ci_u32_e32 v14, vcc_lo, v22, v8, vcc_lo
	s_wait_dscnt 0x0
	s_clause 0x1
	global_store_b32 v[2:3], v0, off
	global_store_b32 v[13:14], v1, off
	v_add_nc_u32_e32 v13, 0xa00, v20
	v_mad_co_u64_u32 v[4:5], null, s17, v9, v[4:5]
	v_mad_co_u64_u32 v[9:10], null, s16, v15, 0
	v_dual_mov_b32 v5, v12 :: v_dual_add_nc_u32 v8, 0x600, v20
	ds_load_2addr_b32 v[13:14], v13 offset0:116 offset1:242
	ds_load_b32 v20, v20 offset:4032
	v_dual_mov_b32 v7, v4 :: v_dual_mov_b32 v4, v10
	ds_load_2addr_b32 v[0:1], v8 offset0:120 offset1:246
	v_lshlrev_b64_e32 v[2:3], 2, v[6:7]
	v_mad_co_u64_u32 v[15:16], null, s17, v15, v[4:5]
	v_mad_co_u64_u32 v[4:5], null, s17, v18, v[5:6]
	;; [unrolled: 1-line block ×3, first 2 shown]
	v_add_nc_u32_e32 v16, 0x3f0, v17
	v_add_co_u32 v2, vcc_lo, v21, v2
	v_mov_b32_e32 v10, v15
	v_mov_b32_e32 v12, v4
	s_delay_alu instid0(VALU_DEP_4) | instskip(SKIP_3) | instid1(VALU_DEP_2)
	v_mad_co_u64_u32 v[5:6], null, s16, v16, 0
	v_mov_b32_e32 v4, v19
	s_wait_alu 0xfffd
	v_add_co_ci_u32_e32 v3, vcc_lo, v22, v3, vcc_lo
	v_mad_co_u64_u32 v[7:8], null, s17, v23, v[4:5]
	s_delay_alu instid0(VALU_DEP_4) | instskip(SKIP_2) | instid1(VALU_DEP_3)
	v_mov_b32_e32 v4, v6
	v_lshlrev_b64_e32 v[8:9], 2, v[9:10]
	v_lshlrev_b64_e32 v[10:11], 2, v[11:12]
	v_mad_co_u64_u32 v[15:16], null, s17, v16, v[4:5]
	v_mov_b32_e32 v19, v7
	s_delay_alu instid0(VALU_DEP_4) | instskip(SKIP_2) | instid1(VALU_DEP_3)
	v_add_co_u32 v7, vcc_lo, v21, v8
	s_wait_alu 0xfffd
	v_add_co_ci_u32_e32 v8, vcc_lo, v22, v9, vcc_lo
	v_lshlrev_b64_e32 v[16:17], 2, v[18:19]
	v_mov_b32_e32 v6, v15
	v_add_co_u32 v9, vcc_lo, v21, v10
	s_wait_alu 0xfffd
	v_add_co_ci_u32_e32 v10, vcc_lo, v22, v11, vcc_lo
	s_delay_alu instid0(VALU_DEP_3) | instskip(SKIP_3) | instid1(VALU_DEP_3)
	v_lshlrev_b64_e32 v[4:5], 2, v[5:6]
	v_add_co_u32 v11, vcc_lo, v21, v16
	s_wait_alu 0xfffd
	v_add_co_ci_u32_e32 v12, vcc_lo, v22, v17, vcc_lo
	v_add_co_u32 v4, vcc_lo, v21, v4
	s_wait_alu 0xfffd
	v_add_co_ci_u32_e32 v5, vcc_lo, v22, v5, vcc_lo
	s_wait_dscnt 0x0
	s_clause 0x4
	global_store_b32 v[2:3], v0, off
	global_store_b32 v[7:8], v1, off
	;; [unrolled: 1-line block ×5, first 2 shown]
.LBB0_21:
	s_nop 0
	s_sendmsg sendmsg(MSG_DEALLOC_VGPRS)
	s_endpgm
	.section	.rodata,"a",@progbits
	.p2align	6, 0x0
	.amdhsa_kernel fft_rtc_back_len1134_factors_2_3_3_3_3_7_wgs_126_tpt_126_half_op_CI_CI_sbrr_dirReg
		.amdhsa_group_segment_fixed_size 0
		.amdhsa_private_segment_fixed_size 0
		.amdhsa_kernarg_size 104
		.amdhsa_user_sgpr_count 2
		.amdhsa_user_sgpr_dispatch_ptr 0
		.amdhsa_user_sgpr_queue_ptr 0
		.amdhsa_user_sgpr_kernarg_segment_ptr 1
		.amdhsa_user_sgpr_dispatch_id 0
		.amdhsa_user_sgpr_private_segment_size 0
		.amdhsa_wavefront_size32 1
		.amdhsa_uses_dynamic_stack 0
		.amdhsa_enable_private_segment 0
		.amdhsa_system_sgpr_workgroup_id_x 1
		.amdhsa_system_sgpr_workgroup_id_y 0
		.amdhsa_system_sgpr_workgroup_id_z 0
		.amdhsa_system_sgpr_workgroup_info 0
		.amdhsa_system_vgpr_workitem_id 0
		.amdhsa_next_free_vgpr 66
		.amdhsa_next_free_sgpr 43
		.amdhsa_reserve_vcc 1
		.amdhsa_float_round_mode_32 0
		.amdhsa_float_round_mode_16_64 0
		.amdhsa_float_denorm_mode_32 3
		.amdhsa_float_denorm_mode_16_64 3
		.amdhsa_fp16_overflow 0
		.amdhsa_workgroup_processor_mode 1
		.amdhsa_memory_ordered 1
		.amdhsa_forward_progress 0
		.amdhsa_round_robin_scheduling 0
		.amdhsa_exception_fp_ieee_invalid_op 0
		.amdhsa_exception_fp_denorm_src 0
		.amdhsa_exception_fp_ieee_div_zero 0
		.amdhsa_exception_fp_ieee_overflow 0
		.amdhsa_exception_fp_ieee_underflow 0
		.amdhsa_exception_fp_ieee_inexact 0
		.amdhsa_exception_int_div_zero 0
	.end_amdhsa_kernel
	.text
.Lfunc_end0:
	.size	fft_rtc_back_len1134_factors_2_3_3_3_3_7_wgs_126_tpt_126_half_op_CI_CI_sbrr_dirReg, .Lfunc_end0-fft_rtc_back_len1134_factors_2_3_3_3_3_7_wgs_126_tpt_126_half_op_CI_CI_sbrr_dirReg
                                        ; -- End function
	.section	.AMDGPU.csdata,"",@progbits
; Kernel info:
; codeLenInByte = 8716
; NumSgprs: 45
; NumVgprs: 66
; ScratchSize: 0
; MemoryBound: 0
; FloatMode: 240
; IeeeMode: 1
; LDSByteSize: 0 bytes/workgroup (compile time only)
; SGPRBlocks: 5
; VGPRBlocks: 8
; NumSGPRsForWavesPerEU: 45
; NumVGPRsForWavesPerEU: 66
; Occupancy: 16
; WaveLimiterHint : 1
; COMPUTE_PGM_RSRC2:SCRATCH_EN: 0
; COMPUTE_PGM_RSRC2:USER_SGPR: 2
; COMPUTE_PGM_RSRC2:TRAP_HANDLER: 0
; COMPUTE_PGM_RSRC2:TGID_X_EN: 1
; COMPUTE_PGM_RSRC2:TGID_Y_EN: 0
; COMPUTE_PGM_RSRC2:TGID_Z_EN: 0
; COMPUTE_PGM_RSRC2:TIDIG_COMP_CNT: 0
	.text
	.p2alignl 7, 3214868480
	.fill 96, 4, 3214868480
	.type	__hip_cuid_6638fbd86610263f,@object ; @__hip_cuid_6638fbd86610263f
	.section	.bss,"aw",@nobits
	.globl	__hip_cuid_6638fbd86610263f
__hip_cuid_6638fbd86610263f:
	.byte	0                               ; 0x0
	.size	__hip_cuid_6638fbd86610263f, 1

	.ident	"AMD clang version 19.0.0git (https://github.com/RadeonOpenCompute/llvm-project roc-6.4.0 25133 c7fe45cf4b819c5991fe208aaa96edf142730f1d)"
	.section	".note.GNU-stack","",@progbits
	.addrsig
	.addrsig_sym __hip_cuid_6638fbd86610263f
	.amdgpu_metadata
---
amdhsa.kernels:
  - .args:
      - .actual_access:  read_only
        .address_space:  global
        .offset:         0
        .size:           8
        .value_kind:     global_buffer
      - .offset:         8
        .size:           8
        .value_kind:     by_value
      - .actual_access:  read_only
        .address_space:  global
        .offset:         16
        .size:           8
        .value_kind:     global_buffer
      - .actual_access:  read_only
        .address_space:  global
        .offset:         24
        .size:           8
        .value_kind:     global_buffer
      - .actual_access:  read_only
        .address_space:  global
        .offset:         32
        .size:           8
        .value_kind:     global_buffer
      - .offset:         40
        .size:           8
        .value_kind:     by_value
      - .actual_access:  read_only
        .address_space:  global
        .offset:         48
        .size:           8
        .value_kind:     global_buffer
      - .actual_access:  read_only
        .address_space:  global
        .offset:         56
        .size:           8
        .value_kind:     global_buffer
      - .offset:         64
        .size:           4
        .value_kind:     by_value
      - .actual_access:  read_only
        .address_space:  global
        .offset:         72
        .size:           8
        .value_kind:     global_buffer
      - .actual_access:  read_only
        .address_space:  global
        .offset:         80
        .size:           8
        .value_kind:     global_buffer
      - .actual_access:  read_only
        .address_space:  global
        .offset:         88
        .size:           8
        .value_kind:     global_buffer
      - .actual_access:  write_only
        .address_space:  global
        .offset:         96
        .size:           8
        .value_kind:     global_buffer
    .group_segment_fixed_size: 0
    .kernarg_segment_align: 8
    .kernarg_segment_size: 104
    .language:       OpenCL C
    .language_version:
      - 2
      - 0
    .max_flat_workgroup_size: 126
    .name:           fft_rtc_back_len1134_factors_2_3_3_3_3_7_wgs_126_tpt_126_half_op_CI_CI_sbrr_dirReg
    .private_segment_fixed_size: 0
    .sgpr_count:     45
    .sgpr_spill_count: 0
    .symbol:         fft_rtc_back_len1134_factors_2_3_3_3_3_7_wgs_126_tpt_126_half_op_CI_CI_sbrr_dirReg.kd
    .uniform_work_group_size: 1
    .uses_dynamic_stack: false
    .vgpr_count:     66
    .vgpr_spill_count: 0
    .wavefront_size: 32
    .workgroup_processor_mode: 1
amdhsa.target:   amdgcn-amd-amdhsa--gfx1201
amdhsa.version:
  - 1
  - 2
...

	.end_amdgpu_metadata
